;; amdgpu-corpus repo=ROCm/rocFFT kind=compiled arch=gfx906 opt=O3
	.text
	.amdgcn_target "amdgcn-amd-amdhsa--gfx906"
	.amdhsa_code_object_version 6
	.protected	fft_rtc_back_len1089_factors_3_11_3_11_wgs_121_tpt_121_dp_op_CI_CI_sbrr_dirReg ; -- Begin function fft_rtc_back_len1089_factors_3_11_3_11_wgs_121_tpt_121_dp_op_CI_CI_sbrr_dirReg
	.globl	fft_rtc_back_len1089_factors_3_11_3_11_wgs_121_tpt_121_dp_op_CI_CI_sbrr_dirReg
	.p2align	8
	.type	fft_rtc_back_len1089_factors_3_11_3_11_wgs_121_tpt_121_dp_op_CI_CI_sbrr_dirReg,@function
fft_rtc_back_len1089_factors_3_11_3_11_wgs_121_tpt_121_dp_op_CI_CI_sbrr_dirReg: ; @fft_rtc_back_len1089_factors_3_11_3_11_wgs_121_tpt_121_dp_op_CI_CI_sbrr_dirReg
; %bb.0:
	s_load_dwordx4 s[16:19], s[4:5], 0x18
	s_load_dwordx4 s[12:15], s[4:5], 0x0
	;; [unrolled: 1-line block ×3, first 2 shown]
	v_mul_u32_u24_e32 v1, 0x21e, v0
	v_add_u32_sdwa v6, s6, v1 dst_sel:DWORD dst_unused:UNUSED_PAD src0_sel:DWORD src1_sel:WORD_1
	s_waitcnt lgkmcnt(0)
	s_load_dwordx2 s[2:3], s[16:17], 0x0
	s_load_dwordx2 s[20:21], s[18:19], 0x0
	v_cmp_lt_u64_e64 s[0:1], s[14:15], 2
	v_mov_b32_e32 v1, 0
	v_mov_b32_e32 v4, 0
	;; [unrolled: 1-line block ×3, first 2 shown]
	s_and_b64 vcc, exec, s[0:1]
	v_mov_b32_e32 v5, 0
	s_cbranch_vccnz .LBB0_8
; %bb.1:
	s_load_dwordx2 s[0:1], s[4:5], 0x10
	s_add_u32 s6, s18, 8
	s_addc_u32 s7, s19, 0
	s_add_u32 s22, s16, 8
	v_mov_b32_e32 v4, 0
	s_addc_u32 s23, s17, 0
	v_mov_b32_e32 v5, 0
	s_waitcnt lgkmcnt(0)
	s_add_u32 s24, s0, 8
	v_mov_b32_e32 v45, v5
	s_addc_u32 s25, s1, 0
	s_mov_b64 s[26:27], 1
	v_mov_b32_e32 v44, v4
.LBB0_2:                                ; =>This Inner Loop Header: Depth=1
	s_load_dwordx2 s[28:29], s[24:25], 0x0
                                        ; implicit-def: $vgpr46_vgpr47
	s_waitcnt lgkmcnt(0)
	v_or_b32_e32 v2, s29, v7
	v_cmp_ne_u64_e32 vcc, 0, v[1:2]
	s_and_saveexec_b64 s[0:1], vcc
	s_xor_b64 s[30:31], exec, s[0:1]
	s_cbranch_execz .LBB0_4
; %bb.3:                                ;   in Loop: Header=BB0_2 Depth=1
	v_cvt_f32_u32_e32 v2, s28
	v_cvt_f32_u32_e32 v3, s29
	s_sub_u32 s0, 0, s28
	s_subb_u32 s1, 0, s29
	v_mac_f32_e32 v2, 0x4f800000, v3
	v_rcp_f32_e32 v2, v2
	v_mul_f32_e32 v2, 0x5f7ffffc, v2
	v_mul_f32_e32 v3, 0x2f800000, v2
	v_trunc_f32_e32 v3, v3
	v_mac_f32_e32 v2, 0xcf800000, v3
	v_cvt_u32_f32_e32 v3, v3
	v_cvt_u32_f32_e32 v2, v2
	v_mul_lo_u32 v8, s0, v3
	v_mul_hi_u32 v9, s0, v2
	v_mul_lo_u32 v11, s1, v2
	v_mul_lo_u32 v10, s0, v2
	v_add_u32_e32 v8, v9, v8
	v_add_u32_e32 v8, v8, v11
	v_mul_hi_u32 v9, v2, v10
	v_mul_lo_u32 v11, v2, v8
	v_mul_hi_u32 v13, v2, v8
	v_mul_hi_u32 v12, v3, v10
	v_mul_lo_u32 v10, v3, v10
	v_mul_hi_u32 v14, v3, v8
	v_add_co_u32_e32 v9, vcc, v9, v11
	v_addc_co_u32_e32 v11, vcc, 0, v13, vcc
	v_mul_lo_u32 v8, v3, v8
	v_add_co_u32_e32 v9, vcc, v9, v10
	v_addc_co_u32_e32 v9, vcc, v11, v12, vcc
	v_addc_co_u32_e32 v10, vcc, 0, v14, vcc
	v_add_co_u32_e32 v8, vcc, v9, v8
	v_addc_co_u32_e32 v9, vcc, 0, v10, vcc
	v_add_co_u32_e32 v2, vcc, v2, v8
	v_addc_co_u32_e32 v3, vcc, v3, v9, vcc
	v_mul_lo_u32 v8, s0, v3
	v_mul_hi_u32 v9, s0, v2
	v_mul_lo_u32 v10, s1, v2
	v_mul_lo_u32 v11, s0, v2
	v_add_u32_e32 v8, v9, v8
	v_add_u32_e32 v8, v8, v10
	v_mul_lo_u32 v12, v2, v8
	v_mul_hi_u32 v13, v2, v11
	v_mul_hi_u32 v14, v2, v8
	;; [unrolled: 1-line block ×3, first 2 shown]
	v_mul_lo_u32 v11, v3, v11
	v_mul_hi_u32 v9, v3, v8
	v_add_co_u32_e32 v12, vcc, v13, v12
	v_addc_co_u32_e32 v13, vcc, 0, v14, vcc
	v_mul_lo_u32 v8, v3, v8
	v_add_co_u32_e32 v11, vcc, v12, v11
	v_addc_co_u32_e32 v10, vcc, v13, v10, vcc
	v_addc_co_u32_e32 v9, vcc, 0, v9, vcc
	v_add_co_u32_e32 v8, vcc, v10, v8
	v_addc_co_u32_e32 v9, vcc, 0, v9, vcc
	v_add_co_u32_e32 v8, vcc, v2, v8
	v_addc_co_u32_e32 v9, vcc, v3, v9, vcc
	v_mad_u64_u32 v[2:3], s[0:1], v6, v9, 0
	v_mul_hi_u32 v10, v6, v8
	v_add_co_u32_e32 v10, vcc, v10, v2
	v_addc_co_u32_e32 v11, vcc, 0, v3, vcc
	v_mad_u64_u32 v[2:3], s[0:1], v7, v8, 0
	v_mad_u64_u32 v[8:9], s[0:1], v7, v9, 0
	v_add_co_u32_e32 v2, vcc, v10, v2
	v_addc_co_u32_e32 v2, vcc, v11, v3, vcc
	v_addc_co_u32_e32 v3, vcc, 0, v9, vcc
	v_add_co_u32_e32 v8, vcc, v2, v8
	v_addc_co_u32_e32 v9, vcc, 0, v3, vcc
	v_mul_lo_u32 v10, s29, v8
	v_mul_lo_u32 v11, s28, v9
	v_mad_u64_u32 v[2:3], s[0:1], s28, v8, 0
	v_add3_u32 v3, v3, v11, v10
	v_sub_u32_e32 v10, v7, v3
	v_mov_b32_e32 v11, s29
	v_sub_co_u32_e32 v2, vcc, v6, v2
	v_subb_co_u32_e64 v10, s[0:1], v10, v11, vcc
	v_subrev_co_u32_e64 v11, s[0:1], s28, v2
	v_subbrev_co_u32_e64 v10, s[0:1], 0, v10, s[0:1]
	v_cmp_le_u32_e64 s[0:1], s29, v10
	v_cndmask_b32_e64 v12, 0, -1, s[0:1]
	v_cmp_le_u32_e64 s[0:1], s28, v11
	v_cndmask_b32_e64 v11, 0, -1, s[0:1]
	v_cmp_eq_u32_e64 s[0:1], s29, v10
	v_cndmask_b32_e64 v10, v12, v11, s[0:1]
	v_add_co_u32_e64 v11, s[0:1], 2, v8
	v_addc_co_u32_e64 v12, s[0:1], 0, v9, s[0:1]
	v_add_co_u32_e64 v13, s[0:1], 1, v8
	v_addc_co_u32_e64 v14, s[0:1], 0, v9, s[0:1]
	v_subb_co_u32_e32 v3, vcc, v7, v3, vcc
	v_cmp_ne_u32_e64 s[0:1], 0, v10
	v_cmp_le_u32_e32 vcc, s29, v3
	v_cndmask_b32_e64 v10, v14, v12, s[0:1]
	v_cndmask_b32_e64 v12, 0, -1, vcc
	v_cmp_le_u32_e32 vcc, s28, v2
	v_cndmask_b32_e64 v2, 0, -1, vcc
	v_cmp_eq_u32_e32 vcc, s29, v3
	v_cndmask_b32_e32 v2, v12, v2, vcc
	v_cmp_ne_u32_e32 vcc, 0, v2
	v_cndmask_b32_e64 v2, v13, v11, s[0:1]
	v_cndmask_b32_e32 v47, v9, v10, vcc
	v_cndmask_b32_e32 v46, v8, v2, vcc
.LBB0_4:                                ;   in Loop: Header=BB0_2 Depth=1
	s_andn2_saveexec_b64 s[0:1], s[30:31]
	s_cbranch_execz .LBB0_6
; %bb.5:                                ;   in Loop: Header=BB0_2 Depth=1
	v_cvt_f32_u32_e32 v2, s28
	s_sub_i32 s30, 0, s28
	v_mov_b32_e32 v47, v1
	v_rcp_iflag_f32_e32 v2, v2
	v_mul_f32_e32 v2, 0x4f7ffffe, v2
	v_cvt_u32_f32_e32 v2, v2
	v_mul_lo_u32 v3, s30, v2
	v_mul_hi_u32 v3, v2, v3
	v_add_u32_e32 v2, v2, v3
	v_mul_hi_u32 v2, v6, v2
	v_mul_lo_u32 v3, v2, s28
	v_add_u32_e32 v8, 1, v2
	v_sub_u32_e32 v3, v6, v3
	v_subrev_u32_e32 v9, s28, v3
	v_cmp_le_u32_e32 vcc, s28, v3
	v_cndmask_b32_e32 v3, v3, v9, vcc
	v_cndmask_b32_e32 v2, v2, v8, vcc
	v_add_u32_e32 v8, 1, v2
	v_cmp_le_u32_e32 vcc, s28, v3
	v_cndmask_b32_e32 v46, v2, v8, vcc
.LBB0_6:                                ;   in Loop: Header=BB0_2 Depth=1
	s_or_b64 exec, exec, s[0:1]
	v_mul_lo_u32 v8, v47, s28
	v_mul_lo_u32 v9, v46, s29
	v_mad_u64_u32 v[2:3], s[0:1], v46, s28, 0
	s_load_dwordx2 s[0:1], s[22:23], 0x0
	s_load_dwordx2 s[28:29], s[6:7], 0x0
	v_add3_u32 v3, v3, v9, v8
	v_sub_co_u32_e32 v2, vcc, v6, v2
	v_subb_co_u32_e32 v3, vcc, v7, v3, vcc
	s_waitcnt lgkmcnt(0)
	v_mul_lo_u32 v6, s0, v3
	v_mul_lo_u32 v7, s1, v2
	v_mad_u64_u32 v[4:5], s[0:1], s0, v2, v[4:5]
	v_mul_lo_u32 v3, s28, v3
	v_mul_lo_u32 v8, s29, v2
	v_mad_u64_u32 v[44:45], s[0:1], s28, v2, v[44:45]
	s_add_u32 s26, s26, 1
	s_addc_u32 s27, s27, 0
	s_add_u32 s6, s6, 8
	v_add3_u32 v45, v8, v45, v3
	s_addc_u32 s7, s7, 0
	v_mov_b32_e32 v2, s14
	s_add_u32 s22, s22, 8
	v_mov_b32_e32 v3, s15
	s_addc_u32 s23, s23, 0
	v_cmp_ge_u64_e32 vcc, s[26:27], v[2:3]
	s_add_u32 s24, s24, 8
	v_add3_u32 v5, v7, v5, v6
	s_addc_u32 s25, s25, 0
	s_cbranch_vccnz .LBB0_9
; %bb.7:                                ;   in Loop: Header=BB0_2 Depth=1
	v_mov_b32_e32 v6, v46
	v_mov_b32_e32 v7, v47
	s_branch .LBB0_2
.LBB0_8:
	v_mov_b32_e32 v45, v5
	v_mov_b32_e32 v47, v7
	;; [unrolled: 1-line block ×4, first 2 shown]
.LBB0_9:
	s_load_dwordx2 s[0:1], s[4:5], 0x28
	s_lshl_b64 s[14:15], s[14:15], 3
	s_add_u32 s4, s18, s14
	s_addc_u32 s5, s19, s15
                                        ; implicit-def: $vgpr136
                                        ; implicit-def: $vgpr137
                                        ; implicit-def: $vgpr138
	s_waitcnt lgkmcnt(0)
	v_cmp_gt_u64_e32 vcc, s[0:1], v[46:47]
	v_cmp_le_u64_e64 s[0:1], s[0:1], v[46:47]
	s_and_saveexec_b64 s[6:7], s[0:1]
	s_xor_b64 s[0:1], exec, s[6:7]
; %bb.10:
	s_mov_b32 s6, 0x21d9eae
	v_mul_hi_u32 v1, v0, s6
                                        ; implicit-def: $vgpr4_vgpr5
	v_mul_u32_u24_e32 v1, 0x79, v1
	v_sub_u32_e32 v136, v0, v1
	v_add_u32_e32 v137, 0x79, v136
	v_add_u32_e32 v138, 0xf2, v136
                                        ; implicit-def: $vgpr0
; %bb.11:
	s_or_saveexec_b64 s[6:7], s[0:1]
                                        ; implicit-def: $vgpr30_vgpr31
                                        ; implicit-def: $vgpr26_vgpr27
                                        ; implicit-def: $vgpr6_vgpr7
                                        ; implicit-def: $vgpr34_vgpr35
                                        ; implicit-def: $vgpr18_vgpr19
                                        ; implicit-def: $vgpr14_vgpr15
                                        ; implicit-def: $vgpr2_vgpr3
                                        ; implicit-def: $vgpr10_vgpr11
                                        ; implicit-def: $vgpr22_vgpr23
	s_xor_b64 exec, exec, s[6:7]
	s_cbranch_execz .LBB0_13
; %bb.12:
	s_add_u32 s0, s16, s14
	s_mov_b32 s14, 0x21d9eae
	s_addc_u32 s1, s17, s15
	v_mul_hi_u32 v1, v0, s14
	s_load_dwordx2 s[0:1], s[0:1], 0x0
	v_mul_u32_u24_e32 v1, 0x79, v1
	v_sub_u32_e32 v136, v0, v1
	s_waitcnt lgkmcnt(0)
	v_mul_lo_u32 v8, s1, v46
	v_mad_u64_u32 v[0:1], s[14:15], s2, v136, 0
	v_mul_lo_u32 v9, s0, v47
	v_mad_u64_u32 v[2:3], s[0:1], s0, v46, 0
	v_add_u32_e32 v137, 0x79, v136
	v_add_u32_e32 v138, 0xf2, v136
	v_mad_u64_u32 v[6:7], s[0:1], s3, v136, v[1:2]
	v_add3_u32 v3, v3, v9, v8
	v_lshlrev_b64 v[2:3], 4, v[2:3]
	v_mov_b32_e32 v1, v6
	v_mov_b32_e32 v6, s9
	v_add_co_u32_e64 v7, s[0:1], s8, v2
	v_add_u32_e32 v8, 0x16b, v136
	v_addc_co_u32_e64 v6, s[0:1], v6, v3, s[0:1]
	v_lshlrev_b64 v[2:3], 4, v[4:5]
	v_mad_u64_u32 v[4:5], s[0:1], s2, v8, 0
	v_add_co_u32_e64 v9, s[0:1], v7, v2
	v_mov_b32_e32 v2, v5
	v_addc_co_u32_e64 v10, s[0:1], v6, v3, s[0:1]
	v_mad_u64_u32 v[2:3], s[0:1], s3, v8, v[2:3]
	v_add_u32_e32 v3, 0x2d6, v136
	v_mad_u64_u32 v[6:7], s[0:1], s2, v3, 0
	v_lshlrev_b64 v[0:1], 4, v[0:1]
	v_mov_b32_e32 v5, v2
	v_add_co_u32_e64 v36, s[0:1], v9, v0
	v_mov_b32_e32 v2, v7
	v_addc_co_u32_e64 v37, s[0:1], v10, v1, s[0:1]
	v_mad_u64_u32 v[2:3], s[0:1], s3, v3, v[2:3]
	v_lshlrev_b64 v[0:1], 4, v[4:5]
	v_mad_u64_u32 v[3:4], s[0:1], s2, v137, 0
	v_add_co_u32_e64 v38, s[0:1], v9, v0
	v_mov_b32_e32 v7, v2
	v_mov_b32_e32 v2, v4
	v_addc_co_u32_e64 v39, s[0:1], v10, v1, s[0:1]
	v_lshlrev_b64 v[0:1], 4, v[6:7]
	v_mad_u64_u32 v[4:5], s[0:1], s3, v137, v[2:3]
	v_add_u32_e32 v7, 0x1e4, v136
	v_mad_u64_u32 v[5:6], s[0:1], s2, v7, 0
	v_add_co_u32_e64 v40, s[0:1], v9, v0
	v_mov_b32_e32 v2, v6
	v_addc_co_u32_e64 v41, s[0:1], v10, v1, s[0:1]
	v_lshlrev_b64 v[0:1], 4, v[3:4]
	v_mad_u64_u32 v[2:3], s[0:1], s3, v7, v[2:3]
	v_add_u32_e32 v7, 0x34f, v136
	v_mad_u64_u32 v[3:4], s[0:1], s2, v7, 0
	v_add_co_u32_e64 v42, s[0:1], v9, v0
	v_mov_b32_e32 v6, v2
	v_mov_b32_e32 v2, v4
	v_addc_co_u32_e64 v43, s[0:1], v10, v1, s[0:1]
	v_lshlrev_b64 v[0:1], 4, v[5:6]
	v_mad_u64_u32 v[4:5], s[0:1], s3, v7, v[2:3]
	v_mad_u64_u32 v[5:6], s[0:1], s2, v138, 0
	v_add_co_u32_e64 v48, s[0:1], v9, v0
	v_mov_b32_e32 v2, v6
	v_addc_co_u32_e64 v49, s[0:1], v10, v1, s[0:1]
	v_lshlrev_b64 v[0:1], 4, v[3:4]
	v_mad_u64_u32 v[2:3], s[0:1], s3, v138, v[2:3]
	v_add_u32_e32 v7, 0x25d, v136
	v_mad_u64_u32 v[3:4], s[0:1], s2, v7, 0
	v_add_co_u32_e64 v50, s[0:1], v9, v0
	v_mov_b32_e32 v6, v2
	v_mov_b32_e32 v2, v4
	v_addc_co_u32_e64 v51, s[0:1], v10, v1, s[0:1]
	v_lshlrev_b64 v[0:1], 4, v[5:6]
	v_mad_u64_u32 v[4:5], s[0:1], s3, v7, v[2:3]
	v_add_u32_e32 v7, 0x3c8, v136
	v_mad_u64_u32 v[5:6], s[0:1], s2, v7, 0
	v_add_co_u32_e64 v52, s[0:1], v9, v0
	v_mov_b32_e32 v2, v6
	v_addc_co_u32_e64 v53, s[0:1], v10, v1, s[0:1]
	v_lshlrev_b64 v[0:1], 4, v[3:4]
	v_mad_u64_u32 v[2:3], s[0:1], s3, v7, v[2:3]
	v_add_co_u32_e64 v54, s[0:1], v9, v0
	v_mov_b32_e32 v6, v2
	v_addc_co_u32_e64 v55, s[0:1], v10, v1, s[0:1]
	v_lshlrev_b64 v[0:1], 4, v[5:6]
	v_add_co_u32_e64 v56, s[0:1], v9, v0
	v_addc_co_u32_e64 v57, s[0:1], v10, v1, s[0:1]
	global_load_dwordx4 v[20:23], v[36:37], off
	global_load_dwordx4 v[8:11], v[38:39], off
	;; [unrolled: 1-line block ×9, first 2 shown]
.LBB0_13:
	s_or_b64 exec, exec, s[6:7]
	s_waitcnt vmcnt(7)
	v_add_f64 v[36:37], v[8:9], v[20:21]
	v_add_f64 v[38:39], v[10:11], v[22:23]
	s_waitcnt vmcnt(6)
	v_add_f64 v[40:41], v[0:1], v[8:9]
	v_add_f64 v[42:43], v[10:11], -v[2:3]
	s_waitcnt vmcnt(4)
	v_add_f64 v[48:49], v[16:17], v[12:13]
	v_add_f64 v[50:51], v[18:19], v[14:15]
	;; [unrolled: 1-line block ×3, first 2 shown]
	v_add_f64 v[54:55], v[8:9], -v[0:1]
	v_add_f64 v[8:9], v[0:1], v[36:37]
	v_add_f64 v[10:11], v[2:3], v[38:39]
	s_waitcnt vmcnt(1)
	v_add_f64 v[36:37], v[24:25], v[4:5]
	v_add_f64 v[38:39], v[26:27], v[6:7]
	;; [unrolled: 1-line block ×5, first 2 shown]
	v_add_f64 v[50:51], v[18:19], -v[34:35]
	v_add_f64 v[34:35], v[34:35], v[18:19]
	v_add_f64 v[32:33], v[16:17], -v[32:33]
	s_waitcnt vmcnt(0)
	v_add_f64 v[16:17], v[28:29], v[36:37]
	v_add_f64 v[18:19], v[30:31], v[38:39]
	;; [unrolled: 1-line block ×3, first 2 shown]
	v_add_f64 v[38:39], v[26:27], -v[30:31]
	v_add_f64 v[26:27], v[30:31], v[26:27]
	v_add_f64 v[56:57], v[24:25], -v[28:29]
	v_fma_f64 v[20:21], v[40:41], -0.5, v[20:21]
	v_fma_f64 v[22:23], v[52:53], -0.5, v[22:23]
	;; [unrolled: 1-line block ×5, first 2 shown]
	s_mov_b32 s0, 0xe8584caa
	v_fma_f64 v[34:35], v[26:27], -0.5, v[6:7]
	s_mov_b32 s1, 0xbfebb67a
	s_mov_b32 s3, 0x3febb67a
	s_mov_b32 s2, s0
	v_fma_f64 v[4:5], v[42:43], s[0:1], v[20:21]
	v_fma_f64 v[12:13], v[42:43], s[2:3], v[20:21]
	;; [unrolled: 1-line block ×12, first 2 shown]
	s_load_dwordx2 s[4:5], s[4:5], 0x0
	v_mad_u32_u24 v36, v136, 48, 0
	v_mad_i32_i24 v37, v137, 48, 0
	s_movk_i32 s0, 0x63
	ds_write_b128 v36, v[8:11]
	ds_write_b128 v36, v[4:7] offset:16
	ds_write_b128 v36, v[12:15] offset:32
	ds_write_b128 v37, v[0:3]
	ds_write_b128 v37, v[20:23] offset:16
	ds_write_b128 v37, v[24:27] offset:32
	v_mad_i32_i24 v37, v138, 48, 0
	v_cmp_gt_u32_e64 s[0:1], s0, v136
	ds_write_b128 v37, v[16:19]
	ds_write_b128 v37, v[28:31] offset:16
	ds_write_b128 v37, v[32:35] offset:32
	s_waitcnt lgkmcnt(0)
	s_barrier
	s_waitcnt lgkmcnt(0)
                                        ; implicit-def: $vgpr42_vgpr43
                                        ; implicit-def: $vgpr38_vgpr39
	s_and_saveexec_b64 s[2:3], s[0:1]
	s_cbranch_execz .LBB0_15
; %bb.14:
	v_lshlrev_b32_e32 v0, 5, v136
	v_sub_u32_e32 v40, v36, v0
	ds_read_b128 v[8:11], v40
	ds_read_b128 v[4:7], v40 offset:1584
	ds_read_b128 v[12:15], v40 offset:3168
	ds_read_b128 v[0:3], v40 offset:4752
	ds_read_b128 v[20:23], v40 offset:6336
	ds_read_b128 v[24:27], v40 offset:7920
	ds_read_b128 v[16:19], v40 offset:9504
	ds_read_b128 v[28:31], v40 offset:11088
	ds_read_b128 v[32:35], v40 offset:12672
	ds_read_b128 v[36:39], v40 offset:14256
	ds_read_b128 v[40:43], v40 offset:15840
.LBB0_15:
	s_or_b64 exec, exec, s[2:3]
	s_movk_i32 s2, 0xab
	v_mul_lo_u16_sdwa v48, v136, s2 dst_sel:DWORD dst_unused:UNUSED_PAD src0_sel:BYTE_0 src1_sel:DWORD
	v_lshrrev_b16_e32 v139, 9, v48
	v_mul_lo_u16_e32 v48, 3, v139
	v_sub_u16_e32 v140, v136, v48
	v_mov_b32_e32 v48, 10
	v_mul_u32_u24_sdwa v48, v140, v48 dst_sel:DWORD dst_unused:UNUSED_PAD src0_sel:BYTE_0 src1_sel:DWORD
	v_lshlrev_b32_e32 v60, 4, v48
	global_load_dwordx4 v[48:51], v60, s[12:13]
	global_load_dwordx4 v[52:55], v60, s[12:13] offset:16
	global_load_dwordx4 v[56:59], v60, s[12:13] offset:32
	;; [unrolled: 1-line block ×9, first 2 shown]
	s_mov_b32 s16, 0xf8bb580b
	s_mov_b32 s2, 0x8764f0ba
	;; [unrolled: 1-line block ×26, first 2 shown]
	s_waitcnt vmcnt(0) lgkmcnt(0)
	s_barrier
	v_mul_f64 v[60:61], v[6:7], v[50:51]
	v_mul_f64 v[50:51], v[4:5], v[50:51]
	;; [unrolled: 1-line block ×12, first 2 shown]
	v_fma_f64 v[80:81], v[6:7], v[48:49], -v[50:51]
	v_fma_f64 v[64:65], v[14:15], v[52:53], -v[54:55]
	v_mul_f64 v[98:99], v[2:3], v[58:59]
	v_mul_f64 v[100:101], v[0:1], v[58:59]
	v_fma_f64 v[14:15], v[42:43], v[90:91], -v[112:113]
	v_mul_f64 v[102:103], v[22:23], v[70:71]
	v_mul_f64 v[70:71], v[20:21], v[70:71]
	v_mul_f64 v[110:111], v[34:35], v[88:89]
	v_mul_f64 v[88:89], v[32:33], v[88:89]
	v_fma_f64 v[66:67], v[4:5], v[48:49], v[60:61]
	v_fma_f64 v[62:63], v[12:13], v[52:53], v[62:63]
	v_fma_f64 v[52:53], v[26:27], v[72:73], -v[74:75]
	v_fma_f64 v[26:27], v[16:17], v[76:77], v[106:107]
	v_fma_f64 v[48:49], v[18:19], v[76:77], -v[78:79]
	;; [unrolled: 2-line block ×3, first 2 shown]
	v_fma_f64 v[18:19], v[36:37], v[94:95], v[114:115]
	v_add_f64 v[128:129], v[80:81], -v[14:15]
	v_add_f64 v[114:115], v[80:81], v[14:15]
	v_mul_f64 v[108:109], v[30:31], v[84:85]
	v_mul_f64 v[84:85], v[28:29], v[84:85]
	v_fma_f64 v[58:59], v[0:1], v[56:57], v[98:99]
	v_fma_f64 v[60:61], v[2:3], v[56:57], -v[100:101]
	v_fma_f64 v[54:55], v[20:21], v[68:69], v[102:103]
	v_fma_f64 v[56:57], v[22:23], v[68:69], -v[70:71]
	v_fma_f64 v[20:21], v[32:33], v[86:87], v[110:111]
	v_fma_f64 v[22:23], v[34:35], v[86:87], -v[88:89]
	v_add_f64 v[90:91], v[66:67], v[12:13]
	v_add_f64 v[124:125], v[64:65], -v[16:17]
	v_add_f64 v[134:135], v[66:67], -v[12:13]
	v_add_f64 v[112:113], v[64:65], v[16:17]
	v_mul_f64 v[68:69], v[128:129], s[16:17]
	v_mul_f64 v[78:79], v[114:115], s[2:3]
	;; [unrolled: 1-line block ×4, first 2 shown]
	v_fma_f64 v[50:51], v[24:25], v[72:73], v[104:105]
	v_fma_f64 v[24:25], v[28:29], v[82:83], v[108:109]
	v_fma_f64 v[28:29], v[30:31], v[82:83], -v[84:85]
	v_add_f64 v[84:85], v[62:63], v[18:19]
	v_add_f64 v[132:133], v[62:63], -v[18:19]
	v_add_f64 v[122:123], v[60:61], -v[22:23]
	v_add_f64 v[98:99], v[60:61], v[22:23]
	v_mul_f64 v[42:43], v[124:125], s[22:23]
	v_mul_f64 v[70:71], v[112:113], s[6:7]
	;; [unrolled: 1-line block ×4, first 2 shown]
	v_fma_f64 v[0:1], v[90:91], s[2:3], -v[68:69]
	v_fma_f64 v[2:3], v[134:135], s[16:17], v[78:79]
	v_fma_f64 v[4:5], v[90:91], s[6:7], -v[86:87]
	v_fma_f64 v[6:7], v[134:135], s[22:23], v[110:111]
	v_add_f64 v[74:75], v[58:59], v[20:21]
	v_add_f64 v[130:131], v[58:59], -v[20:21]
	v_add_f64 v[118:119], v[56:57], -v[28:29]
	v_add_f64 v[94:95], v[56:57], v[28:29]
	v_mul_f64 v[38:39], v[122:123], s[26:27]
	v_mul_f64 v[40:41], v[98:99], s[14:15]
	v_mul_f64 v[76:77], v[122:123], s[30:31]
	v_mul_f64 v[102:103], v[98:99], s[18:19]
	v_fma_f64 v[96:97], v[84:85], s[6:7], -v[42:43]
	v_fma_f64 v[100:101], v[132:133], s[22:23], v[70:71]
	v_fma_f64 v[106:107], v[84:85], s[8:9], -v[88:89]
	v_fma_f64 v[108:109], v[132:133], s[24:25], v[104:105]
	v_add_f64 v[0:1], v[8:9], v[0:1]
	v_add_f64 v[2:3], v[10:11], v[2:3]
	;; [unrolled: 1-line block ×5, first 2 shown]
	v_add_f64 v[126:127], v[54:55], -v[24:25]
	v_add_f64 v[116:117], v[52:53], -v[48:49]
	v_add_f64 v[92:93], v[52:53], v[48:49]
	v_mul_f64 v[34:35], v[118:119], s[24:25]
	v_mul_f64 v[36:37], v[94:95], s[8:9]
	v_fma_f64 v[141:142], v[74:75], s[14:15], -v[38:39]
	v_fma_f64 v[143:144], v[130:131], s[26:27], v[40:41]
	v_fma_f64 v[145:146], v[74:75], s[18:19], -v[76:77]
	v_fma_f64 v[147:148], v[130:131], s[30:31], v[102:103]
	v_add_f64 v[0:1], v[96:97], v[0:1]
	v_add_f64 v[2:3], v[100:101], v[2:3]
	v_add_f64 v[4:5], v[106:107], v[4:5]
	v_add_f64 v[6:7], v[108:109], v[6:7]
	v_mul_f64 v[96:97], v[118:119], s[36:37]
	v_mul_f64 v[106:107], v[94:95], s[14:15]
	v_add_f64 v[82:83], v[50:51], v[26:27]
	v_add_f64 v[120:121], v[50:51], -v[26:27]
	v_mul_f64 v[30:31], v[116:117], s[34:35]
	v_mul_f64 v[32:33], v[92:93], s[18:19]
	v_fma_f64 v[149:150], v[72:73], s[8:9], -v[34:35]
	v_fma_f64 v[151:152], v[126:127], s[24:25], v[36:37]
	v_add_f64 v[0:1], v[141:142], v[0:1]
	v_add_f64 v[2:3], v[143:144], v[2:3]
	;; [unrolled: 1-line block ×4, first 2 shown]
	v_fma_f64 v[141:142], v[72:73], s[14:15], -v[96:97]
	v_fma_f64 v[143:144], v[126:127], s[36:37], v[106:107]
	v_mul_f64 v[100:101], v[116:117], s[38:39]
	v_mul_f64 v[108:109], v[92:93], s[2:3]
	v_fma_f64 v[145:146], v[82:83], s[18:19], -v[30:31]
	v_add_f64 v[0:1], v[149:150], v[0:1]
	v_fma_f64 v[147:148], v[120:121], s[34:35], v[32:33]
	v_add_f64 v[2:3], v[151:152], v[2:3]
	v_add_f64 v[141:142], v[141:142], v[4:5]
	;; [unrolled: 1-line block ×3, first 2 shown]
	v_fma_f64 v[149:150], v[82:83], s[2:3], -v[100:101]
	v_fma_f64 v[151:152], v[120:121], s[38:39], v[108:109]
	v_add_f64 v[4:5], v[145:146], v[0:1]
	v_add_f64 v[6:7], v[147:148], v[2:3]
	;; [unrolled: 1-line block ×4, first 2 shown]
	s_and_saveexec_b64 s[28:29], s[0:1]
	s_cbranch_execz .LBB0_17
; %bb.16:
	v_mul_f64 v[141:142], v[134:135], s[34:35]
	v_mul_f64 v[143:144], v[128:129], s[34:35]
	;; [unrolled: 1-line block ×8, first 2 shown]
	v_fma_f64 v[147:148], v[114:115], s[18:19], v[141:142]
	v_fma_f64 v[151:152], v[90:91], s[18:19], -v[143:144]
	v_fma_f64 v[183:184], v[112:113], s[2:3], v[145:146]
	v_fma_f64 v[189:190], v[84:85], s[2:3], -v[149:150]
	s_mov_b32 s23, 0x3fed1bb4
	v_mul_f64 v[191:192], v[126:127], s[22:23]
	v_fma_f64 v[193:194], v[98:99], s[8:9], v[181:182]
	v_mul_f64 v[195:196], v[118:119], s[22:23]
	v_add_f64 v[147:148], v[10:11], v[147:148]
	v_add_f64 v[151:152], v[8:9], v[151:152]
	v_fma_f64 v[141:142], v[114:115], s[18:19], -v[141:142]
	v_fma_f64 v[197:198], v[74:75], s[8:9], -v[187:188]
	;; [unrolled: 1-line block ×3, first 2 shown]
	v_fma_f64 v[199:200], v[94:95], s[6:7], v[191:192]
	v_fma_f64 v[181:182], v[98:99], s[8:9], -v[181:182]
	v_fma_f64 v[201:202], v[72:73], s[6:7], -v[195:196]
	v_add_f64 v[147:148], v[183:184], v[147:148]
	v_add_f64 v[151:152], v[189:190], v[151:152]
	v_mul_f64 v[189:190], v[120:121], s[26:27]
	v_add_f64 v[141:142], v[10:11], v[141:142]
	v_mul_f64 v[207:208], v[134:135], s[24:25]
	v_fma_f64 v[209:210], v[90:91], s[18:19], v[143:144]
	v_fma_f64 v[191:192], v[94:95], s[6:7], -v[191:192]
	v_fma_f64 v[187:188], v[74:75], s[8:9], v[187:188]
	v_add_f64 v[147:148], v[193:194], v[147:148]
	v_mul_f64 v[193:194], v[116:117], s[26:27]
	v_add_f64 v[151:152], v[197:198], v[151:152]
	v_fma_f64 v[205:206], v[92:93], s[14:15], v[189:190]
	v_add_f64 v[141:142], v[145:146], v[141:142]
	v_mul_f64 v[213:214], v[126:127], s[34:35]
	v_mul_f64 v[217:218], v[120:121], s[22:23]
	v_fma_f64 v[189:190], v[92:93], s[14:15], -v[189:190]
	v_add_f64 v[147:148], v[199:200], v[147:148]
	v_fma_f64 v[145:146], v[82:83], s[14:15], -v[193:194]
	v_add_f64 v[151:152], v[201:202], v[151:152]
	v_add_f64 v[80:81], v[10:11], v[80:81]
	;; [unrolled: 1-line block ×3, first 2 shown]
	v_fma_f64 v[219:220], v[94:95], s[18:19], v[213:214]
	v_add_f64 v[66:67], v[8:9], v[66:67]
	v_mul_f64 v[155:156], v[134:135], s[16:17]
	v_add_f64 v[143:144], v[205:206], v[147:148]
	v_mul_f64 v[147:148], v[132:133], s[36:37]
	v_add_f64 v[141:142], v[145:146], v[151:152]
	v_fma_f64 v[145:146], v[84:85], s[2:3], v[149:150]
	v_fma_f64 v[149:150], v[114:115], s[8:9], v[207:208]
	v_add_f64 v[151:152], v[8:9], v[209:210]
	v_mul_f64 v[205:206], v[130:131], s[16:17]
	v_add_f64 v[181:182], v[191:192], v[181:182]
	v_mul_f64 v[191:192], v[128:129], s[24:25]
	v_fma_f64 v[209:210], v[112:113], s[14:15], v[147:148]
	v_fma_f64 v[207:208], v[114:115], s[8:9], -v[207:208]
	v_fma_f64 v[147:148], v[112:113], s[14:15], -v[147:148]
	v_add_f64 v[149:150], v[10:11], v[149:150]
	v_add_f64 v[145:146], v[145:146], v[151:152]
	v_fma_f64 v[215:216], v[98:99], s[2:3], v[205:206]
	v_fma_f64 v[151:152], v[82:83], s[14:15], v[193:194]
	;; [unrolled: 1-line block ×3, first 2 shown]
	v_mul_f64 v[195:196], v[124:125], s[36:37]
	v_fma_f64 v[211:212], v[90:91], s[8:9], -v[191:192]
	v_add_f64 v[207:208], v[10:11], v[207:208]
	v_add_f64 v[149:150], v[209:210], v[149:150]
	;; [unrolled: 1-line block ×3, first 2 shown]
	v_mul_f64 v[187:188], v[122:123], s[16:17]
	v_fma_f64 v[205:206], v[98:99], s[2:3], -v[205:206]
	v_mul_f64 v[134:135], v[134:135], s[26:27]
	v_fma_f64 v[209:210], v[84:85], s[14:15], -v[195:196]
	v_add_f64 v[211:212], v[8:9], v[211:212]
	v_add_f64 v[207:208], v[147:148], v[207:208]
	;; [unrolled: 1-line block ×4, first 2 shown]
	v_fma_f64 v[193:194], v[92:93], s[6:7], v[217:218]
	v_mul_f64 v[215:216], v[118:119], s[34:35]
	v_fma_f64 v[221:222], v[74:75], s[2:3], -v[187:188]
	v_add_f64 v[147:148], v[189:190], v[181:182]
	v_add_f64 v[209:210], v[209:210], v[211:212]
	;; [unrolled: 1-line block ×5, first 2 shown]
	v_mul_f64 v[128:129], v[128:129], s[26:27]
	v_add_f64 v[64:65], v[80:81], v[64:65]
	v_add_f64 v[62:63], v[66:67], v[62:63]
	v_mul_f64 v[153:154], v[90:91], s[2:3]
	v_mul_f64 v[157:158], v[90:91], s[6:7]
	;; [unrolled: 1-line block ×3, first 2 shown]
	v_add_f64 v[151:152], v[193:194], v[149:150]
	v_fma_f64 v[149:150], v[94:95], s[18:19], -v[213:214]
	v_fma_f64 v[219:220], v[72:73], s[18:19], -v[215:216]
	v_add_f64 v[209:210], v[221:222], v[209:210]
	v_fma_f64 v[191:192], v[90:91], s[8:9], v[191:192]
	v_mul_f64 v[132:133], v[132:133], s[30:31]
	v_fma_f64 v[207:208], v[114:115], s[14:15], v[134:135]
	v_mul_f64 v[124:125], v[124:125], s[30:31]
	v_add_f64 v[60:61], v[64:65], v[60:61]
	v_add_f64 v[181:182], v[149:150], v[181:182]
	v_fma_f64 v[149:150], v[84:85], s[14:15], v[195:196]
	v_fma_f64 v[195:196], v[90:91], s[14:15], -v[128:129]
	v_fma_f64 v[90:91], v[90:91], s[14:15], v[128:129]
	v_add_f64 v[58:59], v[62:63], v[58:59]
	v_mul_f64 v[161:162], v[84:85], s[6:7]
	v_mul_f64 v[165:166], v[84:85], s[8:9]
	v_add_f64 v[193:194], v[219:220], v[209:210]
	v_fma_f64 v[209:210], v[112:113], s[18:19], v[132:133]
	v_add_f64 v[207:208], v[10:11], v[207:208]
	v_mul_f64 v[122:123], v[122:123], s[22:23]
	v_fma_f64 v[213:214], v[84:85], s[18:19], -v[124:125]
	v_fma_f64 v[80:81], v[84:85], s[18:19], v[124:125]
	v_add_f64 v[84:85], v[8:9], v[90:91]
	v_add_f64 v[56:57], v[60:61], v[56:57]
	;; [unrolled: 1-line block ×3, first 2 shown]
	v_mul_f64 v[169:170], v[74:75], s[14:15]
	v_mul_f64 v[173:174], v[74:75], s[18:19]
	v_fma_f64 v[187:188], v[74:75], s[2:3], v[187:188]
	v_add_f64 v[207:208], v[209:210], v[207:208]
	v_fma_f64 v[209:210], v[72:73], s[18:19], v[215:216]
	v_fma_f64 v[215:216], v[74:75], s[6:7], -v[122:123]
	v_fma_f64 v[64:65], v[74:75], s[6:7], v[122:123]
	v_add_f64 v[74:75], v[80:81], v[84:85]
	v_fma_f64 v[134:135], v[114:115], s[14:15], -v[134:135]
	v_add_f64 v[52:53], v[56:57], v[52:53]
	v_add_f64 v[50:51], v[54:55], v[50:51]
	v_mul_f64 v[171:172], v[130:131], s[26:27]
	v_mul_f64 v[175:176], v[130:131], s[30:31]
	v_add_f64 v[191:192], v[8:9], v[191:192]
	v_mul_f64 v[130:131], v[130:131], s[22:23]
	v_add_f64 v[159:160], v[110:111], -v[159:160]
	v_add_f64 v[64:65], v[64:65], v[74:75]
	v_add_f64 v[74:75], v[78:79], -v[155:156]
	v_add_f64 v[54:55], v[153:154], v[68:69]
	v_fma_f64 v[132:133], v[112:113], s[18:19], -v[132:133]
	v_add_f64 v[134:135], v[10:11], v[134:135]
	v_add_f64 v[56:57], v[157:158], v[86:87]
	;; [unrolled: 1-line block ×5, first 2 shown]
	v_fma_f64 v[191:192], v[98:99], s[6:7], v[130:131]
	v_fma_f64 v[98:99], v[98:99], s[6:7], -v[130:131]
	v_add_f64 v[130:131], v[10:11], v[159:160]
	v_add_f64 v[70:71], v[70:71], -v[163:164]
	v_add_f64 v[10:11], v[10:11], v[74:75]
	v_add_f64 v[42:43], v[161:162], v[42:43]
	;; [unrolled: 1-line block ×3, first 2 shown]
	v_mul_f64 v[179:180], v[126:127], s[24:25]
	v_mul_f64 v[183:184], v[126:127], s[36:37]
	v_add_f64 v[195:196], v[8:9], v[195:196]
	v_mul_f64 v[126:127], v[126:127], s[16:17]
	v_add_f64 v[128:129], v[132:133], v[134:135]
	v_add_f64 v[104:105], v[104:105], -v[167:168]
	v_add_f64 v[68:69], v[165:166], v[88:89]
	v_add_f64 v[8:9], v[8:9], v[56:57]
	;; [unrolled: 1-line block ×4, first 2 shown]
	v_mul_f64 v[177:178], v[72:73], s[8:9]
	v_add_f64 v[40:41], v[40:41], -v[171:172]
	v_add_f64 v[10:11], v[70:71], v[10:11]
	v_add_f64 v[38:39], v[169:170], v[38:39]
	;; [unrolled: 1-line block ×3, first 2 shown]
	v_mul_f64 v[185:186], v[72:73], s[14:15]
	v_add_f64 v[149:150], v[187:188], v[149:150]
	v_fma_f64 v[187:188], v[94:95], s[2:3], v[126:127]
	v_fma_f64 v[66:67], v[94:95], s[2:3], -v[126:127]
	v_add_f64 v[90:91], v[98:99], v[128:129]
	v_add_f64 v[94:95], v[102:103], -v[175:176]
	v_add_f64 v[98:99], v[104:105], v[130:131]
	v_add_f64 v[52:53], v[173:174], v[76:77]
	;; [unrolled: 1-line block ×3, first 2 shown]
	v_mul_f64 v[211:212], v[116:117], s[22:23]
	v_mul_f64 v[118:119], v[118:119], s[16:17]
	v_add_f64 v[195:196], v[213:214], v[195:196]
	v_add_f64 v[22:23], v[28:29], v[22:23]
	;; [unrolled: 1-line block ×3, first 2 shown]
	v_mul_f64 v[197:198], v[82:83], s[18:19]
	v_mul_f64 v[203:204], v[120:121], s[34:35]
	v_add_f64 v[36:37], v[36:37], -v[179:180]
	v_add_f64 v[10:11], v[40:41], v[10:11]
	v_add_f64 v[34:35], v[177:178], v[34:35]
	;; [unrolled: 1-line block ×3, first 2 shown]
	v_mul_f64 v[199:200], v[82:83], s[2:3]
	v_mul_f64 v[201:202], v[120:121], s[38:39]
	v_add_f64 v[80:81], v[106:107], -v[183:184]
	v_add_f64 v[84:85], v[94:95], v[98:99]
	v_add_f64 v[42:43], v[185:186], v[96:97]
	;; [unrolled: 1-line block ×3, first 2 shown]
	v_fma_f64 v[189:190], v[82:83], s[6:7], -v[211:212]
	v_mul_f64 v[120:121], v[120:121], s[24:25]
	v_add_f64 v[191:192], v[191:192], v[207:208]
	v_fma_f64 v[207:208], v[82:83], s[6:7], v[211:212]
	v_mul_f64 v[211:212], v[116:117], s[24:25]
	v_fma_f64 v[60:61], v[72:73], s[2:3], v[118:119]
	v_fma_f64 v[205:206], v[92:93], s[6:7], -v[217:218]
	v_fma_f64 v[213:214], v[72:73], s[2:3], -v[118:119]
	v_add_f64 v[195:196], v[215:216], v[195:196]
	v_add_f64 v[22:23], v[22:23], v[16:17]
	;; [unrolled: 1-line block ×3, first 2 shown]
	v_add_f64 v[28:29], v[32:33], -v[203:204]
	v_add_f64 v[32:33], v[36:37], v[10:11]
	v_add_f64 v[30:31], v[197:198], v[30:31]
	;; [unrolled: 1-line block ×3, first 2 shown]
	v_add_f64 v[72:73], v[108:109], -v[201:202]
	v_add_f64 v[78:79], v[80:81], v[84:85]
	v_add_f64 v[26:27], v[199:200], v[100:101]
	;; [unrolled: 1-line block ×3, first 2 shown]
	v_fma_f64 v[62:63], v[92:93], s[8:9], -v[120:121]
	v_add_f64 v[66:67], v[66:67], v[90:91]
	v_fma_f64 v[58:59], v[82:83], s[8:9], v[211:212]
	v_add_f64 v[36:37], v[60:61], v[64:65]
	v_add_f64 v[209:210], v[209:210], v[149:150]
	v_fma_f64 v[215:216], v[92:93], s[8:9], v[120:121]
	v_add_f64 v[187:188], v[187:188], v[191:192]
	v_add_f64 v[149:150], v[189:190], v[193:194]
	;; [unrolled: 1-line block ×3, first 2 shown]
	v_fma_f64 v[181:182], v[82:83], s[8:9], -v[211:212]
	v_add_f64 v[189:190], v[213:214], v[195:196]
	v_add_f64 v[24:25], v[22:23], v[14:15]
	;; [unrolled: 1-line block ×10, first 2 shown]
	v_mov_b32_e32 v13, 4
	v_mul_u32_u24_e32 v12, 0x210, v139
	v_lshlrev_b32_sdwa v13, v13, v140 dst_sel:DWORD dst_unused:UNUSED_PAD src0_sel:DWORD src1_sel:BYTE_0
	v_add3_u32 v12, 0, v12, v13
	v_add_f64 v[112:113], v[215:216], v[187:188]
	v_add_f64 v[110:111], v[181:182], v[189:190]
	ds_write_b128 v12, v[22:25]
	ds_write_b128 v12, v[18:21] offset:48
	ds_write_b128 v12, v[14:17] offset:96
	;; [unrolled: 1-line block ×10, first 2 shown]
.LBB0_17:
	s_or_b64 exec, exec, s[28:29]
	s_movk_i32 s2, 0xf9
	v_mul_lo_u16_sdwa v8, v136, s2 dst_sel:DWORD dst_unused:UNUSED_PAD src0_sel:BYTE_0 src1_sel:DWORD
	v_lshrrev_b16_e32 v73, 13, v8
	v_mul_lo_u16_e32 v8, 33, v73
	v_sub_u16_e32 v74, v136, v8
	v_mov_b32_e32 v16, 5
	v_lshlrev_b32_sdwa v17, v16, v74 dst_sel:DWORD dst_unused:UNUSED_PAD src0_sel:DWORD src1_sel:BYTE_0
	s_waitcnt lgkmcnt(0)
	s_barrier
	global_load_dwordx4 v[8:11], v17, s[12:13] offset:496
	global_load_dwordx4 v[12:15], v17, s[12:13] offset:480
	v_mul_lo_u16_sdwa v17, v137, s2 dst_sel:DWORD dst_unused:UNUSED_PAD src0_sel:BYTE_0 src1_sel:DWORD
	v_lshrrev_b16_e32 v75, 13, v17
	v_mul_lo_u16_e32 v17, 33, v75
	v_sub_u16_e32 v76, v137, v17
	v_lshlrev_b32_sdwa v24, v16, v76 dst_sel:DWORD dst_unused:UNUSED_PAD src0_sel:DWORD src1_sel:BYTE_0
	s_mov_b32 s2, 0xf83f
	global_load_dwordx4 v[16:19], v24, s[12:13] offset:496
	global_load_dwordx4 v[20:23], v24, s[12:13] offset:480
	v_mul_u32_u24_sdwa v24, v138, s2 dst_sel:DWORD dst_unused:UNUSED_PAD src0_sel:WORD_0 src1_sel:DWORD
	v_lshrrev_b32_e32 v77, 21, v24
	v_mul_lo_u16_e32 v24, 33, v77
	v_sub_u16_e32 v78, v138, v24
	v_lshlrev_b32_e32 v32, 5, v78
	global_load_dwordx4 v[24:27], v32, s[12:13] offset:480
	global_load_dwordx4 v[28:31], v32, s[12:13] offset:496
	v_lshl_add_u32 v48, v136, 4, 0
	v_lshl_add_u32 v65, v137, 4, 0
	;; [unrolled: 1-line block ×3, first 2 shown]
	ds_read_b128 v[32:35], v48
	ds_read_b128 v[36:39], v48 offset:5808
	ds_read_b128 v[40:43], v48 offset:11616
	;; [unrolled: 1-line block ×3, first 2 shown]
	ds_read_b128 v[53:56], v53
	ds_read_b128 v[57:60], v48 offset:7744
	ds_read_b128 v[61:64], v48 offset:9680
	ds_read_b128 v[65:68], v65
	ds_read_b128 v[69:72], v48 offset:15488
	v_mov_b32_e32 v79, 4
	v_mul_u32_u24_e32 v73, 0x630, v73
	v_mul_u32_u24_e32 v75, 0x630, v75
	v_lshlrev_b32_sdwa v74, v79, v74 dst_sel:DWORD dst_unused:UNUSED_PAD src0_sel:DWORD src1_sel:BYTE_0
	v_lshlrev_b32_sdwa v76, v79, v76 dst_sel:DWORD dst_unused:UNUSED_PAD src0_sel:DWORD src1_sel:BYTE_0
	v_mul_u32_u24_e32 v85, 0x630, v77
	v_lshlrev_b32_e32 v86, 4, v78
	v_add3_u32 v87, 0, v73, v74
	v_add3_u32 v88, 0, v75, v76
	s_mov_b32 s2, 0xe8584caa
	s_mov_b32 s3, 0xbfebb67a
	;; [unrolled: 1-line block ×4, first 2 shown]
	s_waitcnt vmcnt(0) lgkmcnt(0)
	s_barrier
	v_mul_f64 v[75:76], v[42:43], v[10:11]
	v_mul_f64 v[73:74], v[38:39], v[14:15]
	;; [unrolled: 1-line block ×8, first 2 shown]
	v_fma_f64 v[36:37], v[36:37], v[12:13], v[73:74]
	v_fma_f64 v[12:13], v[38:39], v[12:13], -v[14:15]
	v_mul_f64 v[81:82], v[63:64], v[26:27]
	v_mul_f64 v[26:27], v[61:62], v[26:27]
	;; [unrolled: 1-line block ×4, first 2 shown]
	v_fma_f64 v[14:15], v[40:41], v[8:9], v[75:76]
	v_fma_f64 v[10:11], v[42:43], v[8:9], -v[10:11]
	v_fma_f64 v[8:9], v[57:58], v[20:21], v[77:78]
	v_fma_f64 v[20:21], v[59:60], v[20:21], -v[22:23]
	;; [unrolled: 2-line block ×5, first 2 shown]
	v_add_f64 v[30:31], v[32:33], v[36:37]
	v_add_f64 v[38:39], v[36:37], v[14:15]
	v_add_f64 v[40:41], v[12:13], -v[10:11]
	v_add_f64 v[42:43], v[34:35], v[12:13]
	v_add_f64 v[12:13], v[12:13], v[10:11]
	;; [unrolled: 1-line block ×6, first 2 shown]
	v_add_f64 v[73:74], v[24:25], -v[28:29]
	v_add_f64 v[75:76], v[55:56], v[24:25]
	v_add_f64 v[24:25], v[24:25], v[28:29]
	v_add_f64 v[36:37], v[36:37], -v[14:15]
	v_add_f64 v[57:58], v[20:21], -v[16:17]
	v_add_f64 v[59:60], v[67:68], v[20:21]
	v_add_f64 v[63:64], v[8:9], -v[22:23]
	v_add_f64 v[69:70], v[53:54], v[18:19]
	;; [unrolled: 2-line block ×3, first 2 shown]
	v_fma_f64 v[14:15], v[38:39], -0.5, v[32:33]
	v_add_f64 v[10:11], v[42:43], v[10:11]
	v_fma_f64 v[18:19], v[12:13], -0.5, v[34:35]
	v_add_f64 v[20:21], v[49:50], v[22:23]
	v_fma_f64 v[30:31], v[51:52], -0.5, v[65:66]
	v_fma_f64 v[38:39], v[61:62], -0.5, v[67:68]
	;; [unrolled: 1-line block ×4, first 2 shown]
	v_add_f64 v[22:23], v[59:60], v[16:17]
	v_add_f64 v[32:33], v[69:70], v[26:27]
	v_add_f64 v[34:35], v[75:76], v[28:29]
	v_fma_f64 v[12:13], v[40:41], s[2:3], v[14:15]
	v_fma_f64 v[16:17], v[40:41], s[6:7], v[14:15]
	;; [unrolled: 1-line block ×12, first 2 shown]
	v_add3_u32 v49, 0, v85, v86
	ds_write_b128 v87, v[8:11]
	ds_write_b128 v87, v[12:15] offset:528
	ds_write_b128 v87, v[16:19] offset:1056
	ds_write_b128 v88, v[20:23]
	ds_write_b128 v88, v[24:27] offset:528
	ds_write_b128 v88, v[28:31] offset:1056
	;; [unrolled: 3-line block ×3, first 2 shown]
	s_waitcnt lgkmcnt(0)
	s_barrier
	s_and_saveexec_b64 s[2:3], s[0:1]
	s_cbranch_execz .LBB0_19
; %bb.18:
	ds_read_b128 v[8:11], v48
	ds_read_b128 v[12:15], v48 offset:1584
	ds_read_b128 v[16:19], v48 offset:3168
	ds_read_b128 v[20:23], v48 offset:4752
	ds_read_b128 v[24:27], v48 offset:6336
	ds_read_b128 v[28:31], v48 offset:7920
	ds_read_b128 v[32:35], v48 offset:9504
	ds_read_b128 v[36:39], v48 offset:11088
	ds_read_b128 v[40:43], v48 offset:12672
	ds_read_b128 v[0:3], v48 offset:14256
	ds_read_b128 v[4:7], v48 offset:15840
.LBB0_19:
	s_or_b64 exec, exec, s[2:3]
	s_movk_i32 s2, 0x63
	v_cmp_gt_u32_e64 s[2:3], s2, v136
	s_and_b64 s[2:3], vcc, s[2:3]
	s_and_saveexec_b64 s[6:7], s[2:3]
	s_cbranch_execz .LBB0_21
; %bb.20:
	v_add_u32_e32 v48, 0xffffff9d, v136
	v_cndmask_b32_e64 v48, v48, v136, s[0:1]
	v_mul_i32_i24_e32 v48, 10, v48
	v_mov_b32_e32 v49, 0
	v_lshlrev_b64 v[48:49], 4, v[48:49]
	v_mov_b32_e32 v50, s13
	v_add_co_u32_e32 v88, vcc, s12, v48
	v_addc_co_u32_e32 v89, vcc, v50, v49, vcc
	global_load_dwordx4 v[48:51], v[88:89], off offset:1600
	global_load_dwordx4 v[52:55], v[88:89], off offset:1616
	;; [unrolled: 1-line block ×10, first 2 shown]
	v_mul_lo_u32 v88, s5, v46
	v_mul_lo_u32 v89, s4, v47
	v_mad_u64_u32 v[46:47], s[0:1], s4, v46, 0
	s_mov_b32 s18, 0xfd768dbf
	s_mov_b32 s19, 0xbfd207e7
	v_add3_u32 v47, v47, v89, v88
	s_mov_b32 s24, 0xf8bb580b
	s_mov_b32 s14, 0x9bcd5057
	;; [unrolled: 1-line block ×24, first 2 shown]
	s_waitcnt vmcnt(9) lgkmcnt(5)
	v_mul_f64 v[88:89], v[30:31], v[50:51]
	s_waitcnt vmcnt(8) lgkmcnt(4)
	v_mul_f64 v[90:91], v[34:35], v[54:55]
	v_mul_f64 v[50:51], v[28:29], v[50:51]
	;; [unrolled: 1-line block ×3, first 2 shown]
	s_waitcnt vmcnt(7)
	v_mul_f64 v[92:93], v[26:27], v[58:59]
	s_waitcnt vmcnt(6) lgkmcnt(3)
	v_mul_f64 v[94:95], v[38:39], v[62:63]
	s_waitcnt vmcnt(3)
	v_mul_f64 v[100:101], v[18:19], v[74:75]
	v_mul_f64 v[58:59], v[24:25], v[58:59]
	s_waitcnt vmcnt(1)
	v_mul_f64 v[104:105], v[14:15], v[82:83]
	s_waitcnt vmcnt(0) lgkmcnt(0)
	v_mul_f64 v[106:107], v[6:7], v[86:87]
	v_mul_f64 v[62:63], v[36:37], v[62:63]
	;; [unrolled: 1-line block ×9, first 2 shown]
	v_fma_f64 v[88:89], v[28:29], v[48:49], v[88:89]
	v_fma_f64 v[90:91], v[32:33], v[52:53], v[90:91]
	v_fma_f64 v[48:49], v[30:31], v[48:49], -v[50:51]
	v_fma_f64 v[52:53], v[34:35], v[52:53], -v[54:55]
	v_fma_f64 v[54:55], v[24:25], v[56:57], v[92:93]
	v_fma_f64 v[92:93], v[36:37], v[60:61], v[94:95]
	;; [unrolled: 1-line block ×5, first 2 shown]
	v_mul_f64 v[70:71], v[40:41], v[70:71]
	v_mul_f64 v[78:79], v[0:1], v[78:79]
	v_fma_f64 v[56:57], v[26:27], v[56:57], -v[58:59]
	v_fma_f64 v[58:59], v[38:39], v[60:61], -v[62:63]
	v_fma_f64 v[38:39], v[20:21], v[64:65], v[96:97]
	v_fma_f64 v[60:61], v[40:41], v[68:69], v[98:99]
	v_fma_f64 v[34:35], v[22:23], v[64:65], -v[66:67]
	v_fma_f64 v[20:21], v[0:1], v[76:77], v[102:103]
	v_fma_f64 v[40:41], v[18:19], v[72:73], -v[74:75]
	v_fma_f64 v[64:65], v[14:15], v[80:81], -v[82:83]
	;; [unrolled: 1-line block ×3, first 2 shown]
	v_add_f64 v[82:83], v[50:51], -v[16:17]
	v_fma_f64 v[62:63], v[2:3], v[76:77], -v[78:79]
	v_fma_f64 v[42:43], v[42:43], v[68:69], -v[70:71]
	v_add_f64 v[74:75], v[38:39], -v[60:61]
	v_add_f64 v[78:79], v[36:37], -v[20:21]
	v_add_f64 v[108:109], v[50:51], v[16:17]
	v_add_f64 v[70:71], v[54:55], -v[92:93]
	v_add_f64 v[84:85], v[64:65], v[18:19]
	v_add_f64 v[110:111], v[64:65], -v[18:19]
	v_mul_f64 v[2:3], v[82:83], s[18:19]
	v_add_f64 v[80:81], v[40:41], v[62:63]
	v_add_f64 v[106:107], v[40:41], -v[62:63]
	v_mul_f64 v[12:13], v[78:79], s[24:25]
	v_add_f64 v[76:77], v[34:35], v[42:43]
	v_add_f64 v[102:103], v[34:35], -v[42:43]
	v_add_f64 v[104:105], v[36:37], v[20:21]
	v_mul_f64 v[24:25], v[110:111], s[18:19]
	v_fma_f64 v[28:29], v[84:85], s[14:15], v[2:3]
	v_mul_f64 v[6:7], v[74:75], s[8:9]
	v_mul_f64 v[30:31], v[106:107], s[24:25]
	v_fma_f64 v[116:117], v[80:81], s[16:17], v[12:13]
	v_fma_f64 v[2:3], v[84:85], s[14:15], -v[2:3]
	v_add_f64 v[66:67], v[88:89], -v[90:91]
	v_add_f64 v[72:73], v[56:57], v[58:59]
	v_fma_f64 v[118:119], v[108:109], s[14:15], -v[24:25]
	v_add_f64 v[28:29], v[10:11], v[28:29]
	v_add_f64 v[98:99], v[56:57], -v[58:59]
	v_add_f64 v[100:101], v[38:39], v[60:61]
	v_mul_f64 v[4:5], v[70:71], s[12:13]
	v_mul_f64 v[26:27], v[102:103], s[8:9]
	v_fma_f64 v[124:125], v[76:77], s[0:1], v[6:7]
	v_fma_f64 v[126:127], v[104:105], s[16:17], -v[30:31]
	v_fma_f64 v[12:13], v[80:81], s[16:17], -v[12:13]
	v_add_f64 v[118:119], v[8:9], v[118:119]
	v_add_f64 v[2:3], v[10:11], v[2:3]
	;; [unrolled: 1-line block ×5, first 2 shown]
	v_mul_f64 v[0:1], v[66:67], s[6:7]
	v_mul_f64 v[22:23], v[98:99], s[12:13]
	v_mul_f64 v[114:115], v[82:83], s[8:9]
	v_mul_f64 v[122:123], v[110:111], s[8:9]
	v_fma_f64 v[128:129], v[72:73], s[4:5], v[4:5]
	v_fma_f64 v[132:133], v[100:101], s[0:1], -v[26:27]
	v_fma_f64 v[6:7], v[76:77], s[0:1], -v[6:7]
	v_add_f64 v[118:119], v[126:127], v[118:119]
	v_add_f64 v[2:3], v[12:13], v[2:3]
	;; [unrolled: 1-line block ×3, first 2 shown]
	v_mul_f64 v[112:113], v[78:79], s[26:27]
	v_mul_f64 v[120:121], v[106:107], s[26:27]
	v_fma_f64 v[116:117], v[68:69], s[2:3], v[0:1]
	v_fma_f64 v[28:29], v[96:97], s[4:5], -v[22:23]
	v_fma_f64 v[124:125], v[68:69], s[2:3], -v[0:1]
	;; [unrolled: 1-line block ×3, first 2 shown]
	v_fma_f64 v[4:5], v[100:101], s[0:1], v[26:27]
	v_fma_f64 v[24:25], v[108:109], s[14:15], v[24:25]
	v_add_f64 v[26:27], v[132:133], v[118:119]
	v_add_f64 v[2:3], v[6:7], v[2:3]
	;; [unrolled: 1-line block ×3, first 2 shown]
	v_fma_f64 v[12:13], v[84:85], s[0:1], v[114:115]
	v_fma_f64 v[126:127], v[108:109], s[0:1], -v[122:123]
	v_add_f64 v[94:95], v[48:49], -v[52:53]
	v_mul_f64 v[32:33], v[74:75], s[22:23]
	v_fma_f64 v[30:31], v[104:105], s[16:17], v[30:31]
	v_fma_f64 v[118:119], v[80:81], s[2:3], v[112:113]
	v_add_f64 v[24:25], v[8:9], v[24:25]
	v_add_f64 v[26:27], v[28:29], v[26:27]
	;; [unrolled: 1-line block ×5, first 2 shown]
	v_mul_f64 v[116:117], v[102:103], s[22:23]
	v_fma_f64 v[6:7], v[104:105], s[2:3], -v[120:121]
	v_add_f64 v[12:13], v[8:9], v[126:127]
	v_add_f64 v[86:87], v[88:89], v[90:91]
	v_mul_f64 v[14:15], v[94:95], s[6:7]
	v_add_f64 v[24:25], v[30:31], v[24:25]
	v_mul_f64 v[30:31], v[70:71], s[18:19]
	v_fma_f64 v[126:127], v[76:77], s[16:17], v[32:33]
	v_add_f64 v[0:1], v[118:119], v[0:1]
	v_fma_f64 v[128:129], v[100:101], s[16:17], -v[116:117]
	v_add_f64 v[6:7], v[6:7], v[12:13]
	v_fma_f64 v[12:13], v[84:85], s[0:1], -v[114:115]
	v_fma_f64 v[130:131], v[86:87], s[2:3], -v[14:15]
	v_fma_f64 v[22:23], v[96:97], s[4:5], v[22:23]
	v_mul_f64 v[118:119], v[98:99], s[18:19]
	v_add_f64 v[4:5], v[4:5], v[24:25]
	v_mul_f64 v[24:25], v[66:67], s[12:13]
	v_fma_f64 v[114:115], v[72:73], s[14:15], v[30:31]
	v_add_f64 v[0:1], v[126:127], v[0:1]
	v_add_f64 v[6:7], v[128:129], v[6:7]
	v_fma_f64 v[128:129], v[86:87], s[2:3], v[14:15]
	v_fma_f64 v[14:15], v[80:81], s[2:3], -v[112:113]
	v_add_f64 v[12:13], v[10:11], v[12:13]
	v_mul_f64 v[126:127], v[94:95], s[12:13]
	v_fma_f64 v[132:133], v[96:97], s[14:15], -v[118:119]
	v_add_f64 v[4:5], v[22:23], v[4:5]
	v_fma_f64 v[22:23], v[68:69], s[4:5], v[24:25]
	v_add_f64 v[112:113], v[114:115], v[0:1]
	v_add_f64 v[0:1], v[130:131], v[26:27]
	v_fma_f64 v[26:27], v[76:77], s[16:17], -v[32:33]
	v_add_f64 v[32:33], v[14:15], v[12:13]
	v_add_f64 v[14:15], v[124:125], v[28:29]
	v_fma_f64 v[28:29], v[108:109], s[0:1], v[122:123]
	v_fma_f64 v[114:115], v[86:87], s[4:5], -v[126:127]
	v_add_f64 v[132:133], v[132:133], v[6:7]
	v_add_f64 v[6:7], v[22:23], v[112:113]
	v_mul_f64 v[112:113], v[82:83], s[6:7]
	v_fma_f64 v[22:23], v[72:73], s[14:15], -v[30:31]
	v_fma_f64 v[30:31], v[104:105], s[2:3], v[120:121]
	v_add_f64 v[12:13], v[128:129], v[4:5]
	v_add_f64 v[28:29], v[8:9], v[28:29]
	;; [unrolled: 1-line block ×4, first 2 shown]
	v_mul_f64 v[32:33], v[78:79], s[28:29]
	v_fma_f64 v[114:115], v[84:85], s[2:3], v[112:113]
	v_fma_f64 v[116:117], v[100:101], s[16:17], v[116:117]
	v_mul_f64 v[120:121], v[110:111], s[6:7]
	v_fma_f64 v[118:119], v[96:97], s[14:15], v[118:119]
	v_add_f64 v[28:29], v[30:31], v[28:29]
	v_add_f64 v[22:23], v[22:23], v[26:27]
	v_mul_f64 v[26:27], v[74:75], s[12:13]
	v_fma_f64 v[30:31], v[80:81], s[14:15], v[32:33]
	v_add_f64 v[114:115], v[10:11], v[114:115]
	v_mul_f64 v[122:123], v[106:107], s[28:29]
	v_fma_f64 v[124:125], v[108:109], s[2:3], -v[120:121]
	v_fma_f64 v[24:25], v[68:69], s[4:5], -v[24:25]
	v_add_f64 v[28:29], v[116:117], v[28:29]
	v_fma_f64 v[116:117], v[86:87], s[4:5], v[126:127]
	v_mul_f64 v[126:127], v[70:71], s[22:23]
	v_fma_f64 v[128:129], v[76:77], s[4:5], v[26:27]
	v_add_f64 v[30:31], v[30:31], v[114:115]
	v_mul_f64 v[114:115], v[102:103], s[12:13]
	v_fma_f64 v[130:131], v[104:105], s[14:15], -v[122:123]
	v_add_f64 v[124:125], v[8:9], v[124:125]
	v_add_f64 v[28:29], v[118:119], v[28:29]
	;; [unrolled: 1-line block ×3, first 2 shown]
	v_mul_f64 v[118:119], v[66:67], s[8:9]
	v_fma_f64 v[132:133], v[72:73], s[16:17], v[126:127]
	v_add_f64 v[30:31], v[128:129], v[30:31]
	v_mul_f64 v[128:129], v[98:99], s[22:23]
	v_fma_f64 v[134:135], v[100:101], s[4:5], -v[114:115]
	v_add_f64 v[124:125], v[130:131], v[124:125]
	v_add_f64 v[22:23], v[116:117], v[28:29]
	v_fma_f64 v[28:29], v[84:85], s[2:3], -v[112:113]
	v_fma_f64 v[120:121], v[108:109], s[2:3], v[120:121]
	s_mov_b32 s13, 0xbfed1bb4
	v_mul_f64 v[112:113], v[94:95], s[8:9]
	v_fma_f64 v[116:117], v[68:69], s[0:1], v[118:119]
	v_add_f64 v[30:31], v[132:133], v[30:31]
	v_fma_f64 v[130:131], v[96:97], s[16:17], -v[128:129]
	v_add_f64 v[124:125], v[134:135], v[124:125]
	v_fma_f64 v[32:33], v[80:81], s[14:15], -v[32:33]
	v_add_f64 v[28:29], v[10:11], v[28:29]
	v_mul_f64 v[134:135], v[82:83], s[12:13]
	v_fma_f64 v[122:123], v[104:105], s[14:15], v[122:123]
	v_add_f64 v[120:121], v[8:9], v[120:121]
	v_fma_f64 v[132:133], v[86:87], s[0:1], -v[112:113]
	v_fma_f64 v[114:115], v[100:101], s[4:5], v[114:115]
	v_add_f64 v[124:125], v[130:131], v[124:125]
	v_fma_f64 v[130:131], v[76:77], s[4:5], -v[26:27]
	v_add_f64 v[32:33], v[32:33], v[28:29]
	v_add_f64 v[28:29], v[116:117], v[30:31]
	v_mul_f64 v[116:117], v[78:79], s[8:9]
	v_fma_f64 v[30:31], v[84:85], s[4:5], v[134:135]
	v_add_f64 v[120:121], v[122:123], v[120:121]
	v_fma_f64 v[122:123], v[72:73], s[16:17], -v[126:127]
	v_add_f64 v[26:27], v[132:133], v[124:125]
	v_mul_f64 v[124:125], v[74:75], s[28:29]
	v_add_f64 v[32:33], v[130:131], v[32:33]
	v_fma_f64 v[128:129], v[96:97], s[16:17], v[128:129]
	v_fma_f64 v[126:127], v[80:81], s[0:1], v[116:117]
	v_add_f64 v[30:31], v[10:11], v[30:31]
	v_add_f64 v[114:115], v[114:115], v[120:121]
	v_mul_f64 v[120:121], v[110:111], s[12:13]
	v_fma_f64 v[112:113], v[86:87], s[0:1], v[112:113]
	v_fma_f64 v[130:131], v[76:77], s[14:15], v[124:125]
	v_add_f64 v[32:33], v[122:123], v[32:33]
	v_mul_f64 v[122:123], v[70:71], s[26:27]
	v_mul_f64 v[137:138], v[102:103], s[28:29]
	v_add_f64 v[30:31], v[126:127], v[30:31]
	v_add_f64 v[114:115], v[128:129], v[114:115]
	v_mul_f64 v[126:127], v[106:107], s[8:9]
	v_fma_f64 v[128:129], v[108:109], s[4:5], -v[120:121]
	v_mul_f64 v[82:83], v[82:83], s[22:23]
	v_fma_f64 v[134:135], v[84:85], s[4:5], -v[134:135]
	v_fma_f64 v[132:133], v[72:73], s[2:3], v[122:123]
	v_fma_f64 v[120:121], v[108:109], s[4:5], v[120:121]
	v_add_f64 v[130:131], v[130:131], v[30:31]
	v_add_f64 v[30:31], v[112:113], v[114:115]
	v_fma_f64 v[112:113], v[104:105], s[0:1], -v[126:127]
	v_add_f64 v[114:115], v[8:9], v[128:129]
	v_mul_f64 v[78:79], v[78:79], s[12:13]
	v_fma_f64 v[145:146], v[84:85], s[16:17], v[82:83]
	v_mul_f64 v[141:142], v[98:99], s[26:27]
	v_fma_f64 v[116:117], v[80:81], s[0:1], -v[116:117]
	v_add_f64 v[130:131], v[132:133], v[130:131]
	v_fma_f64 v[132:133], v[100:101], s[14:15], -v[137:138]
	v_add_f64 v[134:135], v[10:11], v[134:135]
	v_add_f64 v[112:113], v[112:113], v[114:115]
	v_fma_f64 v[126:127], v[104:105], s[0:1], v[126:127]
	v_add_f64 v[120:121], v[8:9], v[120:121]
	v_mul_f64 v[74:75], v[74:75], s[6:7]
	v_add_f64 v[145:146], v[10:11], v[145:146]
	v_mul_f64 v[128:129], v[94:95], s[24:25]
	v_fma_f64 v[143:144], v[96:97], s[2:3], -v[141:142]
	v_fma_f64 v[124:125], v[76:77], s[14:15], -v[124:125]
	v_add_f64 v[112:113], v[132:133], v[112:113]
	v_fma_f64 v[132:133], v[80:81], s[4:5], v[78:79]
	v_add_f64 v[116:117], v[116:117], v[134:135]
	v_fma_f64 v[134:135], v[100:101], s[14:15], v[137:138]
	v_add_f64 v[120:121], v[126:127], v[120:121]
	v_mul_f64 v[70:71], v[70:71], s[8:9]
	v_fma_f64 v[126:127], v[76:77], s[2:3], v[74:75]
	v_add_f64 v[64:65], v[10:11], v[64:65]
	v_add_f64 v[50:51], v[8:9], v[50:51]
	;; [unrolled: 1-line block ×3, first 2 shown]
	v_fma_f64 v[114:115], v[86:87], s[16:17], -v[128:129]
	v_add_f64 v[112:113], v[143:144], v[112:113]
	v_add_f64 v[116:117], v[124:125], v[116:117]
	v_fma_f64 v[124:125], v[96:97], s[2:3], v[141:142]
	v_add_f64 v[120:121], v[134:135], v[120:121]
	v_fma_f64 v[134:135], v[72:73], s[0:1], v[70:71]
	v_add_f64 v[40:41], v[40:41], v[64:65]
	v_add_f64 v[126:127], v[126:127], v[132:133]
	;; [unrolled: 1-line block ×3, first 2 shown]
	v_fma_f64 v[118:119], v[68:69], s[0:1], -v[118:119]
	v_fma_f64 v[122:123], v[72:73], s[2:3], -v[122:123]
	v_mul_f64 v[110:111], v[110:111], s[22:23]
	v_add_f64 v[120:121], v[124:125], v[120:121]
	v_fma_f64 v[82:83], v[84:85], s[16:17], -v[82:83]
	v_mul_f64 v[84:85], v[102:103], s[6:7]
	v_add_f64 v[124:125], v[134:135], v[126:127]
	v_add_f64 v[126:127], v[34:35], v[40:41]
	;; [unrolled: 1-line block ×5, first 2 shown]
	v_mul_f64 v[118:119], v[66:67], s[24:25]
	v_add_f64 v[64:65], v[122:123], v[116:117]
	v_fma_f64 v[102:103], v[108:109], s[16:17], v[110:111]
	v_fma_f64 v[78:79], v[80:81], s[4:5], -v[78:79]
	v_add_f64 v[56:57], v[56:57], v[126:127]
	v_add_f64 v[10:11], v[10:11], v[82:83]
	;; [unrolled: 1-line block ×3, first 2 shown]
	v_mul_f64 v[98:99], v[98:99], s[8:9]
	v_fma_f64 v[139:140], v[68:69], s[16:17], v[118:119]
	v_fma_f64 v[118:119], v[68:69], s[16:17], -v[118:119]
	v_fma_f64 v[74:75], v[76:77], s[2:3], -v[74:75]
	v_fma_f64 v[76:77], v[100:101], s[2:3], v[84:85]
	v_add_f64 v[48:49], v[48:49], v[56:57]
	v_add_f64 v[10:11], v[78:79], v[10:11]
	;; [unrolled: 1-line block ×3, first 2 shown]
	v_mul_f64 v[66:67], v[66:67], s[18:19]
	v_fma_f64 v[116:117], v[86:87], s[16:17], v[128:129]
	v_add_f64 v[40:41], v[118:119], v[64:65]
	v_mul_f64 v[64:65], v[94:95], s[18:19]
	v_mul_f64 v[94:95], v[106:107], s[12:13]
	v_fma_f64 v[106:107], v[108:109], s[16:17], -v[110:111]
	v_add_f64 v[48:49], v[52:53], v[48:49]
	v_add_f64 v[54:55], v[90:91], v[54:55]
	v_fma_f64 v[52:53], v[100:101], s[2:3], -v[84:85]
	v_add_f64 v[10:11], v[74:75], v[10:11]
	v_add_f64 v[38:39], v[116:117], v[120:121]
	v_fma_f64 v[122:123], v[68:69], s[14:15], v[66:67]
	v_fma_f64 v[56:57], v[104:105], s[4:5], -v[94:95]
	v_add_f64 v[106:107], v[8:9], v[106:107]
	v_fma_f64 v[80:81], v[104:105], s[4:5], v[94:95]
	v_add_f64 v[54:55], v[92:93], v[54:55]
	v_add_f64 v[8:9], v[8:9], v[102:103]
	;; [unrolled: 1-line block ×3, first 2 shown]
	v_fma_f64 v[58:59], v[96:97], s[0:1], -v[98:99]
	v_add_f64 v[36:37], v[139:140], v[130:131]
	v_add_f64 v[50:51], v[122:123], v[124:125]
	;; [unrolled: 1-line block ×6, first 2 shown]
	v_fma_f64 v[48:49], v[86:87], s[14:15], -v[64:65]
	v_add_f64 v[52:53], v[52:53], v[56:57]
	v_fma_f64 v[56:57], v[72:73], s[0:1], -v[70:71]
	v_add_f64 v[20:21], v[20:21], v[54:55]
	v_fma_f64 v[70:71], v[96:97], s[0:1], v[98:99]
	v_add_f64 v[8:9], v[76:77], v[8:9]
	v_add_f64 v[42:43], v[62:63], v[42:43]
	v_mad_u64_u32 v[60:61], s[0:1], s20, v136, 0
	v_add_f64 v[52:53], v[58:59], v[52:53]
	v_fma_f64 v[58:59], v[68:69], s[14:15], -v[66:67]
	v_add_f64 v[16:17], v[16:17], v[20:21]
	v_lshlrev_b64 v[20:21], 4, v[46:47]
	v_add_f64 v[10:11], v[56:57], v[10:11]
	v_fma_f64 v[56:57], v[86:87], s[14:15], v[64:65]
	v_add_f64 v[8:9], v[70:71], v[8:9]
	v_add_f64 v[18:19], v[18:19], v[42:43]
	v_mov_b32_e32 v42, s11
	v_add_co_u32_e32 v43, vcc, s10, v20
	v_addc_co_u32_e32 v42, vcc, v42, v21, vcc
	v_lshlrev_b64 v[20:21], 4, v[44:45]
	v_add_f64 v[48:49], v[48:49], v[52:53]
	v_mov_b32_e32 v52, v61
	v_mad_u64_u32 v[52:53], s[0:1], s21, v136, v[52:53]
	v_add_co_u32_e32 v46, vcc, v43, v20
	v_add_u32_e32 v44, 0x63, v136
	v_addc_co_u32_e32 v47, vcc, v42, v21, vcc
	v_mad_u64_u32 v[42:43], s[0:1], s20, v44, 0
	v_mov_b32_e32 v61, v52
	v_add_f64 v[10:11], v[58:59], v[10:11]
	v_add_f64 v[8:9], v[56:57], v[8:9]
	v_lshlrev_b64 v[20:21], 4, v[60:61]
	v_mad_u64_u32 v[43:44], s[0:1], s21, v44, v[43:44]
	v_add_co_u32_e32 v20, vcc, v46, v20
	v_addc_co_u32_e32 v21, vcc, v47, v21, vcc
	v_add_u32_e32 v52, 0xc6, v136
	v_mad_u64_u32 v[44:45], s[0:1], s20, v52, 0
	global_store_dwordx4 v[20:21], v[16:19], off
	s_nop 0
	v_lshlrev_b64 v[16:17], 4, v[42:43]
	v_mov_b32_e32 v18, v45
	v_add_co_u32_e32 v16, vcc, v46, v16
	v_addc_co_u32_e32 v17, vcc, v47, v17, vcc
	global_store_dwordx4 v[16:17], v[8:11], off
	v_add_u32_e32 v16, 0x129, v136
	v_mad_u64_u32 v[18:19], s[0:1], s21, v52, v[18:19]
	v_mad_u64_u32 v[10:11], s[0:1], s20, v16, 0
	v_mov_b32_e32 v45, v18
	v_add_u32_e32 v19, 0x18c, v136
	v_mad_u64_u32 v[16:17], s[0:1], s21, v16, v[11:12]
	v_lshlrev_b64 v[8:9], 4, v[44:45]
	v_mad_u64_u32 v[17:18], s[0:1], s20, v19, 0
	v_add_co_u32_e32 v8, vcc, v46, v8
	v_addc_co_u32_e32 v9, vcc, v47, v9, vcc
	v_mov_b32_e32 v11, v16
	global_store_dwordx4 v[8:9], v[38:41], off
	v_lshlrev_b64 v[8:9], 4, v[10:11]
	v_mov_b32_e32 v10, v18
	v_mad_u64_u32 v[10:11], s[0:1], s21, v19, v[10:11]
	v_add_u32_e32 v16, 0x1ef, v136
	v_add_co_u32_e32 v8, vcc, v46, v8
	v_mov_b32_e32 v18, v10
	v_mad_u64_u32 v[10:11], s[0:1], s20, v16, 0
	v_addc_co_u32_e32 v9, vcc, v47, v9, vcc
	global_store_dwordx4 v[8:9], v[30:33], off
	v_lshlrev_b64 v[8:9], 4, v[17:18]
	v_mad_u64_u32 v[16:17], s[0:1], s21, v16, v[11:12]
	v_add_u32_e32 v19, 0x252, v136
	v_mad_u64_u32 v[17:18], s[0:1], s20, v19, 0
	v_add_co_u32_e32 v8, vcc, v46, v8
	v_addc_co_u32_e32 v9, vcc, v47, v9, vcc
	v_mov_b32_e32 v11, v16
	global_store_dwordx4 v[8:9], v[22:25], off
	v_lshlrev_b64 v[8:9], 4, v[10:11]
	v_mov_b32_e32 v10, v18
	v_mad_u64_u32 v[10:11], s[0:1], s21, v19, v[10:11]
	v_add_co_u32_e32 v8, vcc, v46, v8
	v_addc_co_u32_e32 v9, vcc, v47, v9, vcc
	global_store_dwordx4 v[8:9], v[12:15], off
	v_mov_b32_e32 v18, v10
	v_add_u32_e32 v12, 0x2b5, v136
	v_mad_u64_u32 v[10:11], s[0:1], s20, v12, 0
	v_add_u32_e32 v14, 0x318, v136
	v_lshlrev_b64 v[8:9], 4, v[17:18]
	v_mad_u64_u32 v[11:12], s[0:1], s21, v12, v[11:12]
	v_mad_u64_u32 v[12:13], s[0:1], s20, v14, 0
	v_add_co_u32_e32 v8, vcc, v46, v8
	v_addc_co_u32_e32 v9, vcc, v47, v9, vcc
	global_store_dwordx4 v[8:9], v[0:3], off
	s_nop 0
	v_lshlrev_b64 v[0:1], 4, v[10:11]
	v_mov_b32_e32 v2, v13
	v_mad_u64_u32 v[2:3], s[0:1], s21, v14, v[2:3]
	v_add_co_u32_e32 v0, vcc, v46, v0
	v_addc_co_u32_e32 v1, vcc, v47, v1, vcc
	global_store_dwordx4 v[0:1], v[4:7], off
	v_mov_b32_e32 v13, v2
	v_add_u32_e32 v4, 0x37b, v136
	v_mad_u64_u32 v[2:3], s[0:1], s20, v4, 0
	v_add_u32_e32 v6, 0x3de, v136
	v_lshlrev_b64 v[0:1], 4, v[12:13]
	v_mad_u64_u32 v[3:4], s[0:1], s21, v4, v[3:4]
	v_mad_u64_u32 v[4:5], s[0:1], s20, v6, 0
	v_add_co_u32_e32 v0, vcc, v46, v0
	v_addc_co_u32_e32 v1, vcc, v47, v1, vcc
	global_store_dwordx4 v[0:1], v[26:29], off
	v_lshlrev_b64 v[0:1], 4, v[2:3]
	v_mov_b32_e32 v2, v5
	v_mad_u64_u32 v[2:3], s[0:1], s21, v6, v[2:3]
	v_add_co_u32_e32 v0, vcc, v46, v0
	v_addc_co_u32_e32 v1, vcc, v47, v1, vcc
	v_mov_b32_e32 v5, v2
	global_store_dwordx4 v[0:1], v[34:37], off
	v_lshlrev_b64 v[0:1], 4, v[4:5]
	v_add_co_u32_e32 v0, vcc, v46, v0
	v_addc_co_u32_e32 v1, vcc, v47, v1, vcc
	global_store_dwordx4 v[0:1], v[48:51], off
.LBB0_21:
	s_endpgm
	.section	.rodata,"a",@progbits
	.p2align	6, 0x0
	.amdhsa_kernel fft_rtc_back_len1089_factors_3_11_3_11_wgs_121_tpt_121_dp_op_CI_CI_sbrr_dirReg
		.amdhsa_group_segment_fixed_size 0
		.amdhsa_private_segment_fixed_size 0
		.amdhsa_kernarg_size 104
		.amdhsa_user_sgpr_count 6
		.amdhsa_user_sgpr_private_segment_buffer 1
		.amdhsa_user_sgpr_dispatch_ptr 0
		.amdhsa_user_sgpr_queue_ptr 0
		.amdhsa_user_sgpr_kernarg_segment_ptr 1
		.amdhsa_user_sgpr_dispatch_id 0
		.amdhsa_user_sgpr_flat_scratch_init 0
		.amdhsa_user_sgpr_private_segment_size 0
		.amdhsa_uses_dynamic_stack 0
		.amdhsa_system_sgpr_private_segment_wavefront_offset 0
		.amdhsa_system_sgpr_workgroup_id_x 1
		.amdhsa_system_sgpr_workgroup_id_y 0
		.amdhsa_system_sgpr_workgroup_id_z 0
		.amdhsa_system_sgpr_workgroup_info 0
		.amdhsa_system_vgpr_workitem_id 0
		.amdhsa_next_free_vgpr 223
		.amdhsa_next_free_sgpr 40
		.amdhsa_reserve_vcc 1
		.amdhsa_reserve_flat_scratch 0
		.amdhsa_float_round_mode_32 0
		.amdhsa_float_round_mode_16_64 0
		.amdhsa_float_denorm_mode_32 3
		.amdhsa_float_denorm_mode_16_64 3
		.amdhsa_dx10_clamp 1
		.amdhsa_ieee_mode 1
		.amdhsa_fp16_overflow 0
		.amdhsa_exception_fp_ieee_invalid_op 0
		.amdhsa_exception_fp_denorm_src 0
		.amdhsa_exception_fp_ieee_div_zero 0
		.amdhsa_exception_fp_ieee_overflow 0
		.amdhsa_exception_fp_ieee_underflow 0
		.amdhsa_exception_fp_ieee_inexact 0
		.amdhsa_exception_int_div_zero 0
	.end_amdhsa_kernel
	.text
.Lfunc_end0:
	.size	fft_rtc_back_len1089_factors_3_11_3_11_wgs_121_tpt_121_dp_op_CI_CI_sbrr_dirReg, .Lfunc_end0-fft_rtc_back_len1089_factors_3_11_3_11_wgs_121_tpt_121_dp_op_CI_CI_sbrr_dirReg
                                        ; -- End function
	.section	.AMDGPU.csdata,"",@progbits
; Kernel info:
; codeLenInByte = 10508
; NumSgprs: 44
; NumVgprs: 223
; ScratchSize: 0
; MemoryBound: 1
; FloatMode: 240
; IeeeMode: 1
; LDSByteSize: 0 bytes/workgroup (compile time only)
; SGPRBlocks: 5
; VGPRBlocks: 55
; NumSGPRsForWavesPerEU: 44
; NumVGPRsForWavesPerEU: 223
; Occupancy: 1
; WaveLimiterHint : 1
; COMPUTE_PGM_RSRC2:SCRATCH_EN: 0
; COMPUTE_PGM_RSRC2:USER_SGPR: 6
; COMPUTE_PGM_RSRC2:TRAP_HANDLER: 0
; COMPUTE_PGM_RSRC2:TGID_X_EN: 1
; COMPUTE_PGM_RSRC2:TGID_Y_EN: 0
; COMPUTE_PGM_RSRC2:TGID_Z_EN: 0
; COMPUTE_PGM_RSRC2:TIDIG_COMP_CNT: 0
	.type	__hip_cuid_8452c91f0539be2b,@object ; @__hip_cuid_8452c91f0539be2b
	.section	.bss,"aw",@nobits
	.globl	__hip_cuid_8452c91f0539be2b
__hip_cuid_8452c91f0539be2b:
	.byte	0                               ; 0x0
	.size	__hip_cuid_8452c91f0539be2b, 1

	.ident	"AMD clang version 19.0.0git (https://github.com/RadeonOpenCompute/llvm-project roc-6.4.0 25133 c7fe45cf4b819c5991fe208aaa96edf142730f1d)"
	.section	".note.GNU-stack","",@progbits
	.addrsig
	.addrsig_sym __hip_cuid_8452c91f0539be2b
	.amdgpu_metadata
---
amdhsa.kernels:
  - .args:
      - .actual_access:  read_only
        .address_space:  global
        .offset:         0
        .size:           8
        .value_kind:     global_buffer
      - .offset:         8
        .size:           8
        .value_kind:     by_value
      - .actual_access:  read_only
        .address_space:  global
        .offset:         16
        .size:           8
        .value_kind:     global_buffer
      - .actual_access:  read_only
        .address_space:  global
        .offset:         24
        .size:           8
        .value_kind:     global_buffer
      - .actual_access:  read_only
        .address_space:  global
        .offset:         32
        .size:           8
        .value_kind:     global_buffer
      - .offset:         40
        .size:           8
        .value_kind:     by_value
      - .actual_access:  read_only
        .address_space:  global
        .offset:         48
        .size:           8
        .value_kind:     global_buffer
      - .actual_access:  read_only
        .address_space:  global
        .offset:         56
        .size:           8
        .value_kind:     global_buffer
      - .offset:         64
        .size:           4
        .value_kind:     by_value
      - .actual_access:  read_only
        .address_space:  global
        .offset:         72
        .size:           8
        .value_kind:     global_buffer
      - .actual_access:  read_only
        .address_space:  global
        .offset:         80
        .size:           8
        .value_kind:     global_buffer
      - .actual_access:  read_only
        .address_space:  global
        .offset:         88
        .size:           8
        .value_kind:     global_buffer
      - .actual_access:  write_only
        .address_space:  global
        .offset:         96
        .size:           8
        .value_kind:     global_buffer
    .group_segment_fixed_size: 0
    .kernarg_segment_align: 8
    .kernarg_segment_size: 104
    .language:       OpenCL C
    .language_version:
      - 2
      - 0
    .max_flat_workgroup_size: 121
    .name:           fft_rtc_back_len1089_factors_3_11_3_11_wgs_121_tpt_121_dp_op_CI_CI_sbrr_dirReg
    .private_segment_fixed_size: 0
    .sgpr_count:     44
    .sgpr_spill_count: 0
    .symbol:         fft_rtc_back_len1089_factors_3_11_3_11_wgs_121_tpt_121_dp_op_CI_CI_sbrr_dirReg.kd
    .uniform_work_group_size: 1
    .uses_dynamic_stack: false
    .vgpr_count:     223
    .vgpr_spill_count: 0
    .wavefront_size: 64
amdhsa.target:   amdgcn-amd-amdhsa--gfx906
amdhsa.version:
  - 1
  - 2
...

	.end_amdgpu_metadata
